;; amdgpu-corpus repo=ROCm/rocFFT kind=compiled arch=gfx950 opt=O3
	.text
	.amdgcn_target "amdgcn-amd-amdhsa--gfx950"
	.amdhsa_code_object_version 6
	.protected	fft_rtc_fwd_len1089_factors_3_11_3_11_wgs_121_tpt_121_sp_ip_CI_unitstride_sbrr_dirReg ; -- Begin function fft_rtc_fwd_len1089_factors_3_11_3_11_wgs_121_tpt_121_sp_ip_CI_unitstride_sbrr_dirReg
	.globl	fft_rtc_fwd_len1089_factors_3_11_3_11_wgs_121_tpt_121_sp_ip_CI_unitstride_sbrr_dirReg
	.p2align	8
	.type	fft_rtc_fwd_len1089_factors_3_11_3_11_wgs_121_tpt_121_sp_ip_CI_unitstride_sbrr_dirReg,@function
fft_rtc_fwd_len1089_factors_3_11_3_11_wgs_121_tpt_121_sp_ip_CI_unitstride_sbrr_dirReg: ; @fft_rtc_fwd_len1089_factors_3_11_3_11_wgs_121_tpt_121_sp_ip_CI_unitstride_sbrr_dirReg
; %bb.0:
	s_load_dwordx2 s[8:9], s[0:1], 0x50
	s_load_dwordx4 s[4:7], s[0:1], 0x0
	s_load_dwordx2 s[10:11], s[0:1], 0x18
	v_mul_u32_u24_e32 v1, 0x21e, v0
	v_add_u32_sdwa v6, s2, v1 dst_sel:DWORD dst_unused:UNUSED_PAD src0_sel:DWORD src1_sel:WORD_1
	v_mov_b32_e32 v4, 0
	s_waitcnt lgkmcnt(0)
	v_cmp_lt_u64_e64 s[2:3], s[6:7], 2
	v_mov_b32_e32 v7, v4
	s_and_b64 vcc, exec, s[2:3]
	v_mov_b64_e32 v[2:3], 0
	s_cbranch_vccnz .LBB0_8
; %bb.1:
	s_load_dwordx2 s[2:3], s[0:1], 0x10
	s_add_u32 s12, s10, 8
	s_addc_u32 s13, s11, 0
	s_mov_b64 s[14:15], 1
	v_mov_b64_e32 v[2:3], 0
	s_waitcnt lgkmcnt(0)
	s_add_u32 s16, s2, 8
	s_addc_u32 s17, s3, 0
.LBB0_2:                                ; =>This Inner Loop Header: Depth=1
	s_load_dwordx2 s[18:19], s[16:17], 0x0
                                        ; implicit-def: $vgpr8_vgpr9
	s_waitcnt lgkmcnt(0)
	v_or_b32_e32 v5, s19, v7
	v_cmp_ne_u64_e32 vcc, 0, v[4:5]
	s_and_saveexec_b64 s[2:3], vcc
	s_xor_b64 s[20:21], exec, s[2:3]
	s_cbranch_execz .LBB0_4
; %bb.3:                                ;   in Loop: Header=BB0_2 Depth=1
	v_cvt_f32_u32_e32 v1, s18
	v_cvt_f32_u32_e32 v5, s19
	s_sub_u32 s2, 0, s18
	s_subb_u32 s3, 0, s19
	v_fmac_f32_e32 v1, 0x4f800000, v5
	v_rcp_f32_e32 v1, v1
	s_nop 0
	v_mul_f32_e32 v1, 0x5f7ffffc, v1
	v_mul_f32_e32 v5, 0x2f800000, v1
	v_trunc_f32_e32 v5, v5
	v_fmac_f32_e32 v1, 0xcf800000, v5
	v_cvt_u32_f32_e32 v5, v5
	v_cvt_u32_f32_e32 v1, v1
	v_mul_lo_u32 v8, s2, v5
	v_mul_hi_u32 v10, s2, v1
	v_mul_lo_u32 v9, s3, v1
	v_add_u32_e32 v10, v10, v8
	v_mul_lo_u32 v12, s2, v1
	v_add_u32_e32 v13, v10, v9
	v_mul_hi_u32 v8, v1, v12
	v_mul_hi_u32 v11, v1, v13
	v_mul_lo_u32 v10, v1, v13
	v_mov_b32_e32 v9, v4
	v_lshl_add_u64 v[8:9], v[8:9], 0, v[10:11]
	v_mul_hi_u32 v11, v5, v12
	v_mul_lo_u32 v12, v5, v12
	v_add_co_u32_e32 v8, vcc, v8, v12
	v_mul_hi_u32 v10, v5, v13
	s_nop 0
	v_addc_co_u32_e32 v8, vcc, v9, v11, vcc
	v_mov_b32_e32 v9, v4
	s_nop 0
	v_addc_co_u32_e32 v11, vcc, 0, v10, vcc
	v_mul_lo_u32 v10, v5, v13
	v_lshl_add_u64 v[8:9], v[8:9], 0, v[10:11]
	v_add_co_u32_e32 v1, vcc, v1, v8
	v_mul_lo_u32 v10, s2, v1
	s_nop 0
	v_addc_co_u32_e32 v5, vcc, v5, v9, vcc
	v_mul_lo_u32 v8, s2, v5
	v_mul_hi_u32 v9, s2, v1
	v_add_u32_e32 v8, v9, v8
	v_mul_lo_u32 v9, s3, v1
	v_add_u32_e32 v12, v8, v9
	v_mul_hi_u32 v14, v5, v10
	v_mul_lo_u32 v15, v5, v10
	v_mul_hi_u32 v9, v1, v12
	v_mul_lo_u32 v8, v1, v12
	v_mul_hi_u32 v10, v1, v10
	v_mov_b32_e32 v11, v4
	v_lshl_add_u64 v[8:9], v[10:11], 0, v[8:9]
	v_add_co_u32_e32 v8, vcc, v8, v15
	v_mul_hi_u32 v13, v5, v12
	s_nop 0
	v_addc_co_u32_e32 v8, vcc, v9, v14, vcc
	v_mul_lo_u32 v10, v5, v12
	s_nop 0
	v_addc_co_u32_e32 v11, vcc, 0, v13, vcc
	v_mov_b32_e32 v9, v4
	v_lshl_add_u64 v[8:9], v[8:9], 0, v[10:11]
	v_add_co_u32_e32 v1, vcc, v1, v8
	v_mul_hi_u32 v10, v6, v1
	s_nop 0
	v_addc_co_u32_e32 v5, vcc, v5, v9, vcc
	v_mad_u64_u32 v[8:9], s[2:3], v6, v5, 0
	v_mov_b32_e32 v11, v4
	v_lshl_add_u64 v[8:9], v[10:11], 0, v[8:9]
	v_mad_u64_u32 v[12:13], s[2:3], v7, v1, 0
	v_add_co_u32_e32 v1, vcc, v8, v12
	v_mad_u64_u32 v[10:11], s[2:3], v7, v5, 0
	s_nop 0
	v_addc_co_u32_e32 v8, vcc, v9, v13, vcc
	v_mov_b32_e32 v9, v4
	s_nop 0
	v_addc_co_u32_e32 v11, vcc, 0, v11, vcc
	v_lshl_add_u64 v[8:9], v[8:9], 0, v[10:11]
	v_mul_lo_u32 v1, s19, v8
	v_mul_lo_u32 v5, s18, v9
	v_mad_u64_u32 v[10:11], s[2:3], s18, v8, 0
	v_add3_u32 v1, v11, v5, v1
	v_sub_u32_e32 v5, v7, v1
	v_mov_b32_e32 v11, s19
	v_sub_co_u32_e32 v14, vcc, v6, v10
	v_lshl_add_u64 v[12:13], v[8:9], 0, 1
	s_nop 0
	v_subb_co_u32_e64 v5, s[2:3], v5, v11, vcc
	v_subrev_co_u32_e64 v10, s[2:3], s18, v14
	v_subb_co_u32_e32 v1, vcc, v7, v1, vcc
	s_nop 0
	v_subbrev_co_u32_e64 v5, s[2:3], 0, v5, s[2:3]
	v_cmp_le_u32_e64 s[2:3], s19, v5
	v_cmp_le_u32_e32 vcc, s19, v1
	s_nop 0
	v_cndmask_b32_e64 v11, 0, -1, s[2:3]
	v_cmp_le_u32_e64 s[2:3], s18, v10
	s_nop 1
	v_cndmask_b32_e64 v10, 0, -1, s[2:3]
	v_cmp_eq_u32_e64 s[2:3], s19, v5
	s_nop 1
	v_cndmask_b32_e64 v5, v11, v10, s[2:3]
	v_lshl_add_u64 v[10:11], v[8:9], 0, 2
	v_cmp_ne_u32_e64 s[2:3], 0, v5
	s_nop 1
	v_cndmask_b32_e64 v5, v13, v11, s[2:3]
	v_cndmask_b32_e64 v11, 0, -1, vcc
	v_cmp_le_u32_e32 vcc, s18, v14
	s_nop 1
	v_cndmask_b32_e64 v13, 0, -1, vcc
	v_cmp_eq_u32_e32 vcc, s19, v1
	s_nop 1
	v_cndmask_b32_e32 v1, v11, v13, vcc
	v_cmp_ne_u32_e32 vcc, 0, v1
	v_cndmask_b32_e64 v1, v12, v10, s[2:3]
	s_nop 0
	v_cndmask_b32_e32 v9, v9, v5, vcc
	v_cndmask_b32_e32 v8, v8, v1, vcc
.LBB0_4:                                ;   in Loop: Header=BB0_2 Depth=1
	s_andn2_saveexec_b64 s[2:3], s[20:21]
	s_cbranch_execz .LBB0_6
; %bb.5:                                ;   in Loop: Header=BB0_2 Depth=1
	v_cvt_f32_u32_e32 v1, s18
	s_sub_i32 s20, 0, s18
	v_rcp_iflag_f32_e32 v1, v1
	s_nop 0
	v_mul_f32_e32 v1, 0x4f7ffffe, v1
	v_cvt_u32_f32_e32 v1, v1
	v_mul_lo_u32 v5, s20, v1
	v_mul_hi_u32 v5, v1, v5
	v_add_u32_e32 v1, v1, v5
	v_mul_hi_u32 v1, v6, v1
	v_mul_lo_u32 v5, v1, s18
	v_sub_u32_e32 v5, v6, v5
	v_add_u32_e32 v8, 1, v1
	v_subrev_u32_e32 v9, s18, v5
	v_cmp_le_u32_e32 vcc, s18, v5
	s_nop 1
	v_cndmask_b32_e32 v5, v5, v9, vcc
	v_cndmask_b32_e32 v1, v1, v8, vcc
	v_add_u32_e32 v8, 1, v1
	v_cmp_le_u32_e32 vcc, s18, v5
	v_mov_b32_e32 v9, v4
	s_nop 0
	v_cndmask_b32_e32 v8, v1, v8, vcc
.LBB0_6:                                ;   in Loop: Header=BB0_2 Depth=1
	s_or_b64 exec, exec, s[2:3]
	v_mad_u64_u32 v[10:11], s[2:3], v8, s18, 0
	s_load_dwordx2 s[2:3], s[12:13], 0x0
	v_mul_lo_u32 v1, v9, s18
	v_mul_lo_u32 v5, v8, s19
	v_add3_u32 v1, v11, v5, v1
	v_sub_co_u32_e32 v5, vcc, v6, v10
	s_add_u32 s14, s14, 1
	s_nop 0
	v_subb_co_u32_e32 v1, vcc, v7, v1, vcc
	s_addc_u32 s15, s15, 0
	s_waitcnt lgkmcnt(0)
	v_mul_lo_u32 v1, s2, v1
	v_mul_lo_u32 v6, s3, v5
	v_mad_u64_u32 v[2:3], s[2:3], s2, v5, v[2:3]
	s_add_u32 s12, s12, 8
	v_add3_u32 v3, v6, v3, v1
	s_addc_u32 s13, s13, 0
	v_mov_b64_e32 v[6:7], s[6:7]
	s_add_u32 s16, s16, 8
	v_cmp_ge_u64_e32 vcc, s[14:15], v[6:7]
	s_addc_u32 s17, s17, 0
	s_cbranch_vccnz .LBB0_9
; %bb.7:                                ;   in Loop: Header=BB0_2 Depth=1
	v_mov_b64_e32 v[6:7], v[8:9]
	s_branch .LBB0_2
.LBB0_8:
	v_mov_b64_e32 v[8:9], v[6:7]
.LBB0_9:
	s_lshl_b64 s[2:3], s[6:7], 3
	s_add_u32 s2, s10, s2
	s_addc_u32 s3, s11, s3
	s_load_dwordx2 s[6:7], s[2:3], 0x0
	s_load_dwordx2 s[10:11], s[0:1], 0x20
	s_mov_b32 s2, 0x21d9eae
                                        ; implicit-def: $vgpr10
                                        ; implicit-def: $vgpr12
                                        ; implicit-def: $vgpr16
                                        ; implicit-def: $vgpr14
                                        ; implicit-def: $vgpr18
                                        ; implicit-def: $vgpr26
	s_waitcnt lgkmcnt(0)
	v_mul_lo_u32 v1, s6, v9
	v_mul_lo_u32 v4, s7, v8
	v_mad_u64_u32 v[2:3], s[0:1], s6, v8, v[2:3]
	v_add3_u32 v3, v4, v3, v1
	v_mul_hi_u32 v1, v0, s2
	v_mul_u32_u24_e32 v1, 0x79, v1
	v_cmp_gt_u64_e64 s[0:1], s[10:11], v[8:9]
	v_sub_u32_e32 v20, v0, v1
	v_lshl_add_u64 v[22:23], v[2:3], 3, s[8:9]
                                        ; implicit-def: $vgpr4
                                        ; implicit-def: $vgpr8
                                        ; implicit-def: $vgpr2
	s_and_saveexec_b64 s[2:3], s[0:1]
	s_cbranch_execz .LBB0_11
; %bb.10:
	v_mov_b32_e32 v21, 0
	v_lshl_add_u64 v[0:1], v[20:21], 3, v[22:23]
	v_add_co_u32_e32 v6, vcc, 0x1000, v0
	s_nop 1
	v_addc_co_u32_e32 v7, vcc, 0, v1, vcc
	global_load_dwordx2 v[4:5], v[0:1], off
	global_load_dwordx2 v[14:15], v[0:1], off offset:968
	global_load_dwordx2 v[18:19], v[0:1], off offset:3872
	;; [unrolled: 1-line block ×8, first 2 shown]
.LBB0_11:
	s_or_b64 exec, exec, s[2:3]
	s_waitcnt vmcnt(0)
	v_pk_add_f32 v[6:7], v[12:13], v[16:17]
	v_pk_add_f32 v[24:25], v[16:17], v[12:13] neg_lo:[0,1] neg_hi:[0,1]
	s_mov_b32 s2, 0x3f5db3d7
	v_pk_fma_f32 v[6:7], v[6:7], 0.5, v[2:3] op_sel_hi:[1,0,1] neg_lo:[1,0,0] neg_hi:[1,0,0]
	v_pk_mul_f32 v[30:31], v[24:25], s[2:3] op_sel_hi:[1,0]
	v_pk_add_f32 v[0:1], v[4:5], v[8:9]
	v_pk_add_f32 v[24:25], v[6:7], v[30:31] op_sel:[0,1] op_sel_hi:[1,0]
	v_pk_add_f32 v[6:7], v[6:7], v[30:31] op_sel:[0,1] op_sel_hi:[1,0] neg_lo:[0,1] neg_hi:[0,1]
	v_pk_add_f32 v[30:31], v[8:9], v[10:11]
	v_pk_add_f32 v[8:9], v[8:9], v[10:11] neg_lo:[0,1] neg_hi:[0,1]
	v_pk_add_f32 v[0:1], v[0:1], v[10:11]
	v_pk_fma_f32 v[4:5], v[30:31], 0.5, v[4:5] op_sel_hi:[1,0,1] neg_lo:[1,0,0] neg_hi:[1,0,0]
	v_pk_mul_f32 v[10:11], v[8:9], s[2:3] op_sel_hi:[1,0]
	v_mad_u32_u24 v21, v20, 24, 0
	v_pk_add_f32 v[8:9], v[4:5], v[10:11] op_sel:[0,1] op_sel_hi:[1,0]
	v_pk_add_f32 v[4:5], v[4:5], v[10:11] op_sel:[0,1] op_sel_hi:[1,0] neg_lo:[0,1] neg_hi:[0,1]
	v_mov_b32_e32 v10, v8
	v_mov_b32_e32 v11, v5
	v_pk_add_f32 v[28:29], v[14:15], v[18:19]
	ds_write2_b64 v21, v[0:1], v[10:11] offset1:1
	v_mov_b32_e32 v10, v4
	v_mov_b32_e32 v11, v9
	ds_write_b64 v21, v[10:11] offset:16
	v_pk_add_f32 v[10:11], v[28:29], v[26:27]
	v_pk_add_f32 v[28:29], v[18:19], v[26:27]
	v_add_u32_e32 v30, 0xb58, v21
	v_pk_fma_f32 v[28:29], v[28:29], 0.5, v[14:15] op_sel_hi:[1,0,1] neg_lo:[1,0,0] neg_hi:[1,0,0]
	v_pk_add_f32 v[14:15], v[18:19], v[26:27] neg_lo:[0,1] neg_hi:[0,1]
	v_pk_add_f32 v[2:3], v[16:17], v[2:3]
	v_pk_mul_f32 v[18:19], v[14:15], s[2:3] op_sel_hi:[1,0]
	s_movk_i32 s2, 0x63
	v_pk_add_f32 v[14:15], v[28:29], v[18:19] op_sel:[0,1] op_sel_hi:[1,0]
	v_pk_add_f32 v[26:27], v[28:29], v[18:19] op_sel:[0,1] op_sel_hi:[1,0] neg_lo:[0,1] neg_hi:[0,1]
	v_mov_b32_e32 v18, v14
	v_mov_b32_e32 v19, v27
	ds_write2_b64 v30, v[10:11], v[18:19] offset1:1
	v_mov_b32_e32 v18, v26
	v_mov_b32_e32 v19, v15
	ds_write_b64 v21, v[18:19] offset:2920
	v_add_u32_e32 v18, 0x16b0, v21
	v_pk_add_f32 v[28:29], v[12:13], v[2:3]
	v_mov_b32_e32 v2, v24
	v_mov_b32_e32 v3, v7
	ds_write2_b64 v18, v[28:29], v[2:3] offset1:1
	v_mov_b32_e32 v2, v6
	v_mov_b32_e32 v3, v25
	v_cmp_gt_u32_e32 vcc, s2, v20
	ds_write_b64 v21, v[2:3] offset:5824
	s_waitcnt lgkmcnt(0)
	s_barrier
	s_waitcnt lgkmcnt(0)
                                        ; implicit-def: $vgpr30
                                        ; implicit-def: $vgpr2
                                        ; implicit-def: $vgpr18
                                        ; implicit-def: $vgpr12
	s_and_saveexec_b64 s[2:3], vcc
	s_cbranch_execz .LBB0_13
; %bb.12:
	v_lshlrev_b32_e32 v0, 4, v20
	v_sub_u32_e32 v21, v21, v0
	v_add_u32_e32 v4, 0x400, v21
	ds_read2_b64 v[8:11], v4 offset0:70 offset1:169
	v_add_u32_e32 v12, 0x800, v21
	v_add_u32_e32 v4, 0x1000, v21
	;; [unrolled: 1-line block ×3, first 2 shown]
	ds_read2_b64 v[0:3], v21 offset1:99
	ds_read2_b64 v[4:7], v4 offset0:82 offset1:181
	ds_read2_b64 v[12:15], v12 offset0:140 offset1:239
	;; [unrolled: 1-line block ×3, first 2 shown]
	ds_read_b64 v[30:31], v21 offset:7920
	s_waitcnt lgkmcnt(3)
	v_mov_b32_e32 v24, v6
	v_mov_b32_e32 v29, v5
	;; [unrolled: 1-line block ×3, first 2 shown]
	s_waitcnt lgkmcnt(2)
	v_mov_b32_e32 v26, v14
	v_mov_b32_e32 v27, v13
	;; [unrolled: 1-line block ×6, first 2 shown]
	s_waitcnt lgkmcnt(1)
	v_mov_b32_e32 v6, v16
	v_mov_b32_e32 v25, v17
	s_waitcnt lgkmcnt(0)
	v_mov_b32_e32 v2, v31
	v_mov_b32_e32 v12, v19
.LBB0_13:
	s_or_b64 exec, exec, s[2:3]
	s_movk_i32 s2, 0xab
	v_mul_lo_u16_sdwa v3, v20, s2 dst_sel:DWORD dst_unused:UNUSED_PAD src0_sel:BYTE_0 src1_sel:DWORD
	v_lshrrev_b16_e32 v21, 9, v3
	v_mul_lo_u16_e32 v3, 3, v21
	v_sub_u16_e32 v90, v20, v3
	v_mov_b32_e32 v3, 10
	v_mul_u32_u24_sdwa v3, v90, v3 dst_sel:DWORD dst_unused:UNUSED_PAD src0_sel:BYTE_0 src1_sel:DWORD
	v_lshlrev_b32_e32 v3, 3, v3
	global_load_dwordx4 v[34:37], v3, s[4:5]
	global_load_dwordx4 v[38:41], v3, s[4:5] offset:16
	global_load_dwordx4 v[42:45], v3, s[4:5] offset:32
	;; [unrolled: 1-line block ×4, first 2 shown]
	v_mov_b32_e32 v16, v5
	v_mov_b32_e32 v32, v9
	;; [unrolled: 1-line block ×8, first 2 shown]
	s_mov_b32 s18, 0xbf68dda4
	s_mov_b32 s2, 0x3ed4b147
	;; [unrolled: 1-line block ×13, first 2 shown]
	s_barrier
	s_waitcnt vmcnt(4)
	v_pk_mul_f32 v[16:17], v[16:17], v[34:35] op_sel_hi:[0,1]
	v_pk_mul_f32 v[66:67], v[32:33], v[36:37] op_sel_hi:[0,1]
	s_waitcnt vmcnt(3)
	v_pk_mul_f32 v[54:55], v[54:55], v[38:39] op_sel_hi:[0,1]
	v_pk_mul_f32 v[56:57], v[56:57], v[40:41] op_sel_hi:[0,1]
	s_waitcnt vmcnt(2)
	v_pk_mul_f32 v[60:61], v[60:61], v[44:45] op_sel_hi:[0,1]
	s_waitcnt vmcnt(1)
	;; [unrolled: 2-line block ×3, first 2 shown]
	v_pk_mul_f32 v[12:13], v[12:13], v[50:51] op_sel_hi:[0,1]
	v_pk_mul_f32 v[2:3], v[2:3], v[52:53] op_sel_hi:[0,1]
	v_pk_fma_f32 v[32:33], v[8:9], v[34:35], v[16:17] op_sel:[0,0,1] op_sel_hi:[1,1,0] neg_lo:[0,0,1] neg_hi:[0,0,1]
	v_pk_fma_f32 v[8:9], v[8:9], v[34:35], v[16:17] op_sel:[0,0,1] op_sel_hi:[0,1,0]
	v_pk_fma_f32 v[34:35], v[4:5], v[36:37], v[66:67] op_sel:[0,0,1] op_sel_hi:[1,1,0] neg_lo:[0,0,1] neg_hi:[0,0,1]
	v_pk_fma_f32 v[4:5], v[4:5], v[36:37], v[66:67] op_sel:[0,0,1] op_sel_hi:[0,1,0]
	;; [unrolled: 2-line block ×8, first 2 shown]
	v_pk_mul_f32 v[58:59], v[58:59], v[42:43] op_sel_hi:[0,1]
	v_pk_mul_f32 v[62:63], v[62:63], v[48:49] op_sel_hi:[0,1]
	v_mov_b32_e32 v33, v9
	v_mov_b32_e32 v19, v3
	v_pk_fma_f32 v[14:15], v[26:27], v[42:43], v[58:59] op_sel:[0,0,1] op_sel_hi:[1,1,0] neg_lo:[0,0,1] neg_hi:[0,0,1]
	v_pk_fma_f32 v[42:43], v[26:27], v[42:43], v[58:59] op_sel:[0,0,1] op_sel_hi:[0,1,0]
	v_pk_fma_f32 v[26:27], v[6:7], v[48:49], v[62:63] op_sel:[0,0,1] op_sel_hi:[1,1,0] neg_lo:[0,0,1] neg_hi:[0,0,1]
	v_pk_fma_f32 v[6:7], v[6:7], v[48:49], v[62:63] op_sel:[0,0,1] op_sel_hi:[0,1,0]
	v_mov_b32_e32 v35, v5
	v_mov_b32_e32 v25, v13
	v_pk_add_f32 v[56:57], v[32:33], v[18:19] neg_lo:[0,1] neg_hi:[0,1]
	v_mov_b32_e32 v37, v11
	v_mov_b32_e32 v27, v7
	v_pk_add_f32 v[10:11], v[32:33], v[18:19]
	v_pk_add_f32 v[58:59], v[34:35], v[24:25] neg_lo:[0,1] neg_hi:[0,1]
	v_pk_mul_f32 v[2:3], v[56:57], s[18:19] op_sel:[1,0] op_sel_hi:[0,0]
	v_mov_b32_e32 v39, v17
	v_mov_b32_e32 v29, v47
	v_pk_add_f32 v[8:9], v[34:35], v[24:25]
	v_pk_add_f32 v[60:61], v[36:37], v[26:27] neg_lo:[0,1] neg_hi:[0,1]
	v_pk_mul_f32 v[12:13], v[58:59], s[8:9] op_sel:[1,0] op_sel_hi:[0,0]
	v_pk_fma_f32 v[50:51], v[10:11], s[2:3], v[2:3] op_sel_hi:[1,0,1]
	v_pk_fma_f32 v[52:53], v[10:11], s[2:3], v[2:3] op_sel_hi:[1,0,1] neg_lo:[0,0,1] neg_hi:[0,0,1]
	v_pk_add_f32 v[6:7], v[36:37], v[26:27]
	v_pk_add_f32 v[62:63], v[38:39], v[28:29] neg_lo:[0,1] neg_hi:[0,1]
	v_pk_mul_f32 v[16:17], v[60:61], s[16:17] op_sel:[1,0] op_sel_hi:[0,0]
	v_pk_fma_f32 v[46:47], v[8:9], s[6:7], v[12:13] op_sel_hi:[1,0,1]
	v_pk_fma_f32 v[48:49], v[8:9], s[6:7], v[12:13] op_sel_hi:[1,0,1] neg_lo:[0,0,1] neg_hi:[0,0,1]
	v_mov_b32_e32 v2, v50
	v_mov_b32_e32 v3, v53
	;; [unrolled: 1-line block ×4, first 2 shown]
	v_pk_add_f32 v[4:5], v[38:39], v[28:29]
	v_pk_mul_f32 v[54:55], v[62:63], s[14:15] op_sel:[1,0] op_sel_hi:[0,0]
	v_pk_fma_f32 v[42:43], v[6:7], s[12:13], v[16:17] op_sel_hi:[1,0,1]
	v_pk_fma_f32 v[44:45], v[6:7], s[12:13], v[16:17] op_sel_hi:[1,0,1] neg_lo:[0,0,1] neg_hi:[0,0,1]
	v_mov_b32_e32 v12, v46
	v_mov_b32_e32 v13, v49
	v_pk_add_f32 v[2:3], v[0:1], v[2:3]
	v_pk_fma_f32 v[30:31], v[4:5], s[10:11], v[54:55] op_sel_hi:[1,0,1]
	v_mov_b32_e32 v16, v42
	v_mov_b32_e32 v17, v45
	v_pk_add_f32 v[2:3], v[12:13], v[2:3]
	v_pk_fma_f32 v[54:55], v[4:5], s[10:11], v[54:55] op_sel_hi:[1,0,1] neg_lo:[0,0,1] neg_hi:[0,0,1]
	v_pk_add_f32 v[2:3], v[16:17], v[2:3]
	v_mov_b32_e32 v12, v30
	v_mov_b32_e32 v13, v55
	v_pk_add_f32 v[2:3], v[12:13], v[2:3]
	v_pk_mul_f32 v[12:13], v[56:57], s[24:25] op_sel:[1,0] op_sel_hi:[0,0]
	v_pk_fma_f32 v[64:65], v[10:11], s[22:23], v[12:13] op_sel_hi:[1,0,1]
	v_pk_fma_f32 v[66:67], v[10:11], s[22:23], v[12:13] op_sel_hi:[1,0,1] neg_lo:[0,0,1] neg_hi:[0,0,1]
	v_pk_mul_f32 v[16:17], v[58:59], s[18:19] op_sel:[1,0] op_sel_hi:[0,0]
	v_mov_b32_e32 v12, v64
	v_mov_b32_e32 v13, v67
	v_pk_fma_f32 v[68:69], v[8:9], s[2:3], v[16:17] op_sel_hi:[1,0,1]
	v_pk_fma_f32 v[70:71], v[8:9], s[2:3], v[16:17] op_sel_hi:[1,0,1] neg_lo:[0,0,1] neg_hi:[0,0,1]
	v_pk_add_f32 v[12:13], v[0:1], v[12:13]
	v_mov_b32_e32 v16, v68
	v_mov_b32_e32 v17, v71
	v_pk_add_f32 v[12:13], v[16:17], v[12:13]
	v_pk_mul_f32 v[16:17], v[60:61], s[20:21] op_sel:[1,0] op_sel_hi:[0,0]
	v_pk_fma_f32 v[72:73], v[6:7], s[10:11], v[16:17] op_sel_hi:[1,0,1]
	v_pk_fma_f32 v[74:75], v[6:7], s[10:11], v[16:17] op_sel_hi:[1,0,1] neg_lo:[0,0,1] neg_hi:[0,0,1]
	v_mov_b32_e32 v16, v72
	v_mov_b32_e32 v17, v75
	v_pk_add_f32 v[12:13], v[16:17], v[12:13]
	v_pk_mul_f32 v[16:17], v[62:63], s[8:9] op_sel:[1,0] op_sel_hi:[0,0]
	v_pk_fma_f32 v[80:81], v[4:5], s[6:7], v[16:17] op_sel_hi:[1,0,1]
	v_pk_fma_f32 v[82:83], v[4:5], s[6:7], v[16:17] op_sel_hi:[1,0,1] neg_lo:[0,0,1] neg_hi:[0,0,1]
	v_mov_b32_e32 v16, v80
	v_mov_b32_e32 v17, v83
	v_pk_add_f32 v[88:89], v[14:15], v[40:41] neg_lo:[0,1] neg_hi:[0,1]
	v_pk_add_f32 v[16:17], v[16:17], v[12:13]
	v_pk_add_f32 v[12:13], v[14:15], v[40:41]
	v_pk_mul_f32 v[76:77], v[88:89], s[26:27] op_sel:[1,0] op_sel_hi:[0,0]
	v_pk_fma_f32 v[84:85], v[12:13], s[12:13], v[76:77] op_sel_hi:[1,0,1]
	v_pk_fma_f32 v[86:87], v[12:13], s[12:13], v[76:77] op_sel_hi:[1,0,1] neg_lo:[0,0,1] neg_hi:[0,0,1]
	v_mov_b32_e32 v76, v84
	v_mov_b32_e32 v77, v87
	v_pk_mul_f32 v[78:79], v[88:89], s[28:29] op_sel:[1,0] op_sel_hi:[0,0]
	v_pk_add_f32 v[16:17], v[76:77], v[16:17]
	v_pk_fma_f32 v[76:77], v[12:13], s[22:23], v[78:79] op_sel_hi:[1,0,1]
	v_pk_fma_f32 v[78:79], v[12:13], s[22:23], v[78:79] op_sel_hi:[1,0,1] neg_lo:[0,0,1] neg_hi:[0,0,1]
	v_mov_b32_e32 v92, v76
	v_mov_b32_e32 v93, v79
	v_pk_add_f32 v[2:3], v[92:93], v[2:3]
	s_and_saveexec_b64 s[18:19], vcc
	s_cbranch_execz .LBB0_15
; %bb.14:
	v_pk_add_f32 v[32:33], v[0:1], v[32:33]
	v_mov_b32_e32 v67, v65
	v_pk_add_f32 v[32:33], v[32:33], v[34:35]
	v_mov_b32_e32 v71, v69
	;; [unrolled: 2-line block ×4, first 2 shown]
	v_pk_add_f32 v[14:15], v[32:33], v[14:15]
	v_mul_u32_u24_e32 v21, 0x108, v21
	v_pk_add_f32 v[14:15], v[14:15], v[40:41]
	v_mov_b32_e32 v87, v85
	v_pk_add_f32 v[14:15], v[14:15], v[28:29]
	v_mov_b32_e32 v92, v57
	;; [unrolled: 2-line block ×4, first 2 shown]
	v_pk_add_f32 v[14:15], v[14:15], v[18:19]
	v_pk_add_f32 v[18:19], v[0:1], v[66:67]
	v_lshlrev_b32_sdwa v24, v24, v90 dst_sel:DWORD dst_unused:UNUSED_PAD src0_sel:DWORD src1_sel:BYTE_0
	v_pk_add_f32 v[18:19], v[70:71], v[18:19]
	v_add3_u32 v21, 0, v21, v24
	v_pk_add_f32 v[18:19], v[74:75], v[18:19]
	v_mov_b32_e32 v56, v59
	v_pk_add_f32 v[18:19], v[82:83], v[18:19]
	v_mov_b32_e32 v57, v58
	v_pk_add_f32 v[18:19], v[86:87], v[18:19]
	ds_write2_b64 v21, v[14:15], v[18:19] offset1:3
	v_pk_mul_f32 v[18:19], v[92:93], s[20:21] op_sel_hi:[1,0]
	v_pk_mul_f32 v[28:29], v[56:57], s[16:17] op_sel_hi:[1,0]
	v_pk_fma_f32 v[24:25], v[10:11], s[10:11], v[18:19] op_sel_hi:[1,0,1] neg_lo:[0,0,1] neg_hi:[0,0,1]
	v_pk_fma_f32 v[18:19], v[10:11], s[10:11], v[18:19] op_sel_hi:[1,0,1]
	v_mov_b32_e32 v55, v31
	v_mov_b32_e32 v26, v24
	;; [unrolled: 1-line block ×3, first 2 shown]
	v_pk_fma_f32 v[30:31], v[8:9], s[12:13], v[28:29] op_sel_hi:[1,0,1] neg_lo:[0,0,1] neg_hi:[0,0,1]
	v_pk_fma_f32 v[28:29], v[8:9], s[12:13], v[28:29] op_sel_hi:[1,0,1]
	v_mov_b32_e32 v58, v61
	v_mov_b32_e32 v59, v60
	v_pk_add_f32 v[26:27], v[0:1], v[26:27]
	v_mov_b32_e32 v32, v30
	v_mov_b32_e32 v33, v29
	s_mov_b32 s16, 0x3f68dda4
	v_pk_add_f32 v[26:27], v[32:33], v[26:27]
	v_pk_mul_f32 v[32:33], v[58:59], s[16:17] op_sel_hi:[1,0]
	v_mov_b32_e32 v60, v63
	v_pk_fma_f32 v[34:35], v[6:7], s[2:3], v[32:33] op_sel_hi:[1,0,1] neg_lo:[0,0,1] neg_hi:[0,0,1]
	v_pk_fma_f32 v[32:33], v[6:7], s[2:3], v[32:33] op_sel_hi:[1,0,1]
	v_mov_b32_e32 v61, v62
	v_mov_b32_e32 v36, v34
	v_mov_b32_e32 v37, v33
	v_pk_add_f32 v[26:27], v[36:37], v[26:27]
	v_pk_mul_f32 v[36:37], v[60:61], s[24:25] op_sel_hi:[1,0]
	v_mov_b32_e32 v53, v51
	v_pk_fma_f32 v[38:39], v[4:5], s[22:23], v[36:37] op_sel_hi:[1,0,1] neg_lo:[0,0,1] neg_hi:[0,0,1]
	v_pk_fma_f32 v[36:37], v[4:5], s[22:23], v[36:37] op_sel_hi:[1,0,1]
	v_mov_b32_e32 v62, v89
	v_mov_b32_e32 v63, v88
	v_pk_add_f32 v[14:15], v[0:1], v[52:53]
	v_mov_b32_e32 v49, v47
	v_mov_b32_e32 v40, v38
	;; [unrolled: 1-line block ×3, first 2 shown]
	v_pk_add_f32 v[14:15], v[48:49], v[14:15]
	v_mov_b32_e32 v45, v43
	v_pk_add_f32 v[26:27], v[40:41], v[26:27]
	v_pk_mul_f32 v[40:41], v[62:63], s[8:9] op_sel_hi:[1,0]
	v_pk_add_f32 v[14:15], v[44:45], v[14:15]
	v_pk_fma_f32 v[42:43], v[12:13], s[6:7], v[40:41] op_sel_hi:[1,0,1] neg_lo:[0,0,1] neg_hi:[0,0,1]
	v_pk_fma_f32 v[40:41], v[12:13], s[6:7], v[40:41] op_sel_hi:[1,0,1]
	v_pk_add_f32 v[14:15], v[54:55], v[14:15]
	v_mov_b32_e32 v79, v77
	v_mov_b32_e32 v44, v42
	;; [unrolled: 1-line block ×3, first 2 shown]
	v_pk_add_f32 v[14:15], v[78:79], v[14:15]
	v_pk_add_f32 v[26:27], v[44:45], v[26:27]
	ds_write2_b64 v21, v[14:15], v[26:27] offset0:6 offset1:9
	v_pk_mul_f32 v[14:15], v[92:93], s[8:9] op_sel_hi:[1,0]
	v_pk_mul_f32 v[46:47], v[56:57], s[14:15] op_sel_hi:[1,0]
	v_pk_fma_f32 v[26:27], v[10:11], s[6:7], v[14:15] op_sel_hi:[1,0,1] neg_lo:[0,0,1] neg_hi:[0,0,1]
	v_pk_fma_f32 v[14:15], v[10:11], s[6:7], v[14:15] op_sel_hi:[1,0,1]
	v_mov_b32_e32 v44, v26
	v_mov_b32_e32 v45, v15
	v_pk_fma_f32 v[48:49], v[8:9], s[10:11], v[46:47] op_sel_hi:[1,0,1] neg_lo:[0,0,1] neg_hi:[0,0,1]
	v_pk_fma_f32 v[46:47], v[8:9], s[10:11], v[46:47] op_sel_hi:[1,0,1]
	v_pk_add_f32 v[44:45], v[0:1], v[44:45]
	v_mov_b32_e32 v50, v48
	v_mov_b32_e32 v51, v47
	v_pk_add_f32 v[44:45], v[50:51], v[44:45]
	v_pk_mul_f32 v[50:51], v[58:59], s[24:25] op_sel_hi:[1,0]
	v_pk_mul_f32 v[56:57], v[56:57], s[28:29] op_sel_hi:[1,0]
	v_pk_fma_f32 v[52:53], v[6:7], s[22:23], v[50:51] op_sel_hi:[1,0,1] neg_lo:[0,0,1] neg_hi:[0,0,1]
	v_pk_fma_f32 v[50:51], v[6:7], s[22:23], v[50:51] op_sel_hi:[1,0,1]
	v_mov_b32_e32 v54, v52
	v_mov_b32_e32 v55, v51
	v_pk_add_f32 v[44:45], v[54:55], v[44:45]
	v_pk_mul_f32 v[54:55], v[60:61], s[26:27] op_sel_hi:[1,0]
	v_pk_mul_f32 v[58:59], v[58:59], s[8:9] op_sel_hi:[1,0]
	v_pk_fma_f32 v[64:65], v[4:5], s[12:13], v[54:55] op_sel_hi:[1,0,1] neg_lo:[0,0,1] neg_hi:[0,0,1]
	v_pk_fma_f32 v[54:55], v[4:5], s[12:13], v[54:55] op_sel_hi:[1,0,1]
	v_mov_b32_e32 v66, v64
	v_mov_b32_e32 v67, v55
	v_pk_add_f32 v[44:45], v[66:67], v[44:45]
	v_pk_mul_f32 v[66:67], v[62:63], s[16:17] op_sel_hi:[1,0]
	v_mov_b32_e32 v15, v27
	v_pk_fma_f32 v[68:69], v[12:13], s[2:3], v[66:67] op_sel_hi:[1,0,1] neg_lo:[0,0,1] neg_hi:[0,0,1]
	v_pk_fma_f32 v[66:67], v[12:13], s[2:3], v[66:67] op_sel_hi:[1,0,1]
	v_mov_b32_e32 v70, v68
	v_mov_b32_e32 v71, v67
	v_pk_add_f32 v[44:45], v[70:71], v[44:45]
	v_pk_mul_f32 v[70:71], v[92:93], s[26:27] op_sel_hi:[1,0]
	v_mov_b32_e32 v19, v25
	v_pk_fma_f32 v[72:73], v[10:11], s[12:13], v[70:71] op_sel_hi:[1,0,1] neg_lo:[0,0,1] neg_hi:[0,0,1]
	v_pk_fma_f32 v[10:11], v[10:11], s[12:13], v[70:71] op_sel_hi:[1,0,1]
	v_pk_fma_f32 v[70:71], v[8:9], s[22:23], v[56:57] op_sel_hi:[1,0,1] neg_lo:[0,0,1] neg_hi:[0,0,1]
	v_pk_fma_f32 v[8:9], v[8:9], s[22:23], v[56:57] op_sel_hi:[1,0,1]
	v_mov_b32_e32 v56, v72
	v_mov_b32_e32 v57, v11
	v_pk_add_f32 v[56:57], v[0:1], v[56:57]
	v_mov_b32_e32 v74, v70
	v_mov_b32_e32 v75, v9
	v_pk_add_f32 v[56:57], v[74:75], v[56:57]
	v_pk_fma_f32 v[74:75], v[6:7], s[6:7], v[58:59] op_sel_hi:[1,0,1] neg_lo:[0,0,1] neg_hi:[0,0,1]
	v_pk_fma_f32 v[6:7], v[6:7], s[6:7], v[58:59] op_sel_hi:[1,0,1]
	v_mov_b32_e32 v58, v74
	v_mov_b32_e32 v59, v7
	v_mov_b32_e32 v11, v73
	v_pk_add_f32 v[56:57], v[58:59], v[56:57]
	v_pk_mul_f32 v[58:59], v[60:61], s[16:17] op_sel_hi:[1,0]
	v_pk_add_f32 v[10:11], v[0:1], v[10:11]
	v_mov_b32_e32 v9, v71
	v_pk_fma_f32 v[60:61], v[4:5], s[2:3], v[58:59] op_sel_hi:[1,0,1] neg_lo:[0,0,1] neg_hi:[0,0,1]
	v_pk_fma_f32 v[4:5], v[4:5], s[2:3], v[58:59] op_sel_hi:[1,0,1]
	v_pk_add_f32 v[8:9], v[8:9], v[10:11]
	v_mov_b32_e32 v7, v75
	v_mov_b32_e32 v59, v5
	v_pk_add_f32 v[6:7], v[6:7], v[8:9]
	v_mov_b32_e32 v5, v61
	v_mov_b32_e32 v58, v60
	v_pk_add_f32 v[4:5], v[4:5], v[6:7]
	v_pk_add_f32 v[6:7], v[0:1], v[14:15]
	v_mov_b32_e32 v47, v49
	v_pk_add_f32 v[0:1], v[0:1], v[18:19]
	v_mov_b32_e32 v29, v31
	v_pk_add_f32 v[56:57], v[58:59], v[56:57]
	v_pk_mul_f32 v[58:59], v[62:63], s[20:21] op_sel_hi:[1,0]
	v_pk_add_f32 v[6:7], v[46:47], v[6:7]
	v_mov_b32_e32 v51, v53
	v_pk_add_f32 v[0:1], v[28:29], v[0:1]
	v_mov_b32_e32 v33, v35
	v_pk_fma_f32 v[62:63], v[12:13], s[10:11], v[58:59] op_sel_hi:[1,0,1] neg_lo:[0,0,1] neg_hi:[0,0,1]
	v_pk_fma_f32 v[12:13], v[12:13], s[10:11], v[58:59] op_sel_hi:[1,0,1]
	v_pk_add_f32 v[6:7], v[50:51], v[6:7]
	v_mov_b32_e32 v55, v65
	v_pk_add_f32 v[0:1], v[32:33], v[0:1]
	v_mov_b32_e32 v37, v39
	v_mov_b32_e32 v58, v62
	;; [unrolled: 1-line block ×4, first 2 shown]
	v_pk_add_f32 v[6:7], v[54:55], v[6:7]
	v_mov_b32_e32 v67, v69
	v_pk_add_f32 v[0:1], v[36:37], v[0:1]
	v_mov_b32_e32 v41, v43
	v_pk_add_f32 v[56:57], v[58:59], v[56:57]
	v_pk_add_f32 v[4:5], v[12:13], v[4:5]
	;; [unrolled: 1-line block ×4, first 2 shown]
	ds_write2_b64 v21, v[44:45], v[56:57] offset0:12 offset1:15
	ds_write2_b64 v21, v[4:5], v[6:7] offset0:18 offset1:21
	;; [unrolled: 1-line block ×3, first 2 shown]
	ds_write_b64 v21, v[16:17] offset:240
.LBB0_15:
	s_or_b64 exec, exec, s[18:19]
	s_movk_i32 s2, 0xf9
	v_add_u16_e32 v15, 0x79, v20
	v_add_u32_e32 v0, 0xf2, v20
	v_mul_lo_u16_sdwa v1, v20, s2 dst_sel:DWORD dst_unused:UNUSED_PAD src0_sel:BYTE_0 src1_sel:DWORD
	v_mul_lo_u16_sdwa v6, v15, s2 dst_sel:DWORD dst_unused:UNUSED_PAD src0_sel:BYTE_0 src1_sel:DWORD
	s_mov_b32 s2, 0xf83f
	v_lshrrev_b16_e32 v18, 13, v6
	v_mul_u32_u24_sdwa v6, v0, s2 dst_sel:DWORD dst_unused:UNUSED_PAD src0_sel:WORD_0 src1_sel:DWORD
	v_lshrrev_b16_e32 v5, 13, v1
	v_lshrrev_b32_e32 v19, 21, v6
	v_mul_lo_u16_e32 v1, 33, v5
	v_mul_lo_u16_e32 v6, 33, v19
	v_sub_u16_e32 v14, v20, v1
	v_mov_b32_e32 v1, 4
	v_sub_u16_e32 v44, v0, v6
	v_lshlrev_b32_sdwa v4, v1, v14 dst_sel:DWORD dst_unused:UNUSED_PAD src0_sel:DWORD src1_sel:BYTE_0
	v_lshlrev_b32_e32 v0, 4, v44
	s_waitcnt lgkmcnt(0)
	s_barrier
	global_load_dwordx4 v[6:9], v0, s[4:5] offset:240
	global_load_dwordx4 v[10:13], v4, s[4:5] offset:240
	v_mul_lo_u16_e32 v0, 33, v18
	v_sub_u16_e32 v15, v15, v0
	v_lshlrev_b32_sdwa v0, v1, v15 dst_sel:DWORD dst_unused:UNUSED_PAD src0_sel:DWORD src1_sel:BYTE_0
	global_load_dwordx4 v[24:27], v0, s[4:5] offset:240
	v_lshl_add_u32 v21, v20, 3, 0
	v_add_u32_e32 v36, 0x1400, v21
	v_add_u32_e32 v40, 0xc00, v21
	;; [unrolled: 1-line block ×3, first 2 shown]
	ds_read_b64 v[0:1], v21 offset:7744
	ds_read2_b64 v[28:31], v21 offset1:121
	ds_read2_b64 v[32:35], v4 offset0:114 offset1:235
	ds_read2_b64 v[36:39], v36 offset0:86 offset1:207
	ds_read2_b64 v[40:43], v40 offset0:100 offset1:221
	v_mov_b32_e32 v45, 3
	v_mul_u32_u24_e32 v5, 0x318, v5
	v_mul_u32_u24_e32 v18, 0x318, v18
	v_lshlrev_b32_sdwa v14, v45, v14 dst_sel:DWORD dst_unused:UNUSED_PAD src0_sel:DWORD src1_sel:BYTE_0
	v_lshlrev_b32_sdwa v15, v45, v15 dst_sel:DWORD dst_unused:UNUSED_PAD src0_sel:DWORD src1_sel:BYTE_0
	v_mul_u32_u24_e32 v19, 0x318, v19
	v_lshlrev_b32_e32 v44, 3, v44
	v_add3_u32 v58, 0, v5, v14
	v_add3_u32 v59, 0, v18, v15
	s_waitcnt lgkmcnt(2)
	v_mov_b32_e32 v14, v35
	s_waitcnt lgkmcnt(1)
	v_mov_b32_e32 v18, v37
	v_add3_u32 v60, 0, v19, v44
	s_mov_b32 s2, 0x3f5db3d7
	s_waitcnt lgkmcnt(0)
	s_barrier
	s_waitcnt vmcnt(2)
	v_mov_b32_e32 v44, v9
	s_waitcnt vmcnt(1)
	v_pk_mul_f32 v[48:49], v[10:11], v[34:35] op_sel_hi:[1,0]
	v_pk_mul_f32 v[50:51], v[12:13], v[36:37] op_sel_hi:[1,0]
	v_pk_mul_f32 v[46:47], v[0:1], v[8:9] op_sel:[1,0] op_sel_hi:[0,1]
	v_pk_mul_f32 v[52:53], v[6:7], v[42:43] op_sel:[0,1]
	v_pk_fma_f32 v[14:15], v[10:11], v[14:15], v[48:49] op_sel:[0,0,1] op_sel_hi:[1,1,0]
	v_pk_fma_f32 v[10:11], v[10:11], v[34:35], v[48:49] op_sel:[0,1,1] op_sel_hi:[1,1,0] neg_lo:[1,0,0] neg_hi:[1,0,0]
	v_pk_fma_f32 v[18:19], v[12:13], v[18:19], v[50:51] op_sel:[0,0,1] op_sel_hi:[1,1,0]
	v_pk_fma_f32 v[12:13], v[12:13], v[36:37], v[50:51] op_sel:[0,1,1] op_sel_hi:[1,1,0] neg_lo:[1,0,0] neg_hi:[1,0,0]
	s_waitcnt vmcnt(0)
	v_pk_mul_f32 v[54:55], v[24:25], v[40:41] op_sel:[0,1]
	v_pk_mul_f32 v[56:57], v[26:27], v[38:39] op_sel:[0,1]
	v_pk_mul_f32 v[44:45], v[0:1], v[44:45] op_sel:[1,0] op_sel_hi:[0,1]
	v_mov_b32_e32 v5, v46
	v_pk_fma_f32 v[34:35], v[6:7], v[42:43], v[52:53] op_sel:[0,0,1] op_sel_hi:[1,1,0] neg_lo:[0,0,1] neg_hi:[0,0,1]
	v_pk_fma_f32 v[6:7], v[6:7], v[42:43], v[52:53] op_sel:[0,0,1] op_sel_hi:[1,0,0]
	v_mov_b32_e32 v15, v11
	v_mov_b32_e32 v19, v13
	v_pk_fma_f32 v[36:37], v[24:25], v[40:41], v[54:55] op_sel:[0,0,1] op_sel_hi:[1,1,0] neg_lo:[0,0,1] neg_hi:[0,0,1]
	v_pk_fma_f32 v[24:25], v[24:25], v[40:41], v[54:55] op_sel:[0,0,1] op_sel_hi:[1,0,0]
	v_pk_fma_f32 v[40:41], v[26:27], v[38:39], v[56:57] op_sel:[0,0,1] op_sel_hi:[1,1,0] neg_lo:[0,0,1] neg_hi:[0,0,1]
	v_pk_fma_f32 v[26:27], v[26:27], v[38:39], v[56:57] op_sel:[0,0,1] op_sel_hi:[1,0,0]
	v_pk_fma_f32 v[38:39], v[0:1], v[8:9], v[44:45] neg_lo:[0,0,1] neg_hi:[0,0,1]
	v_pk_fma_f32 v[0:1], v[0:1], v[8:9], v[4:5] op_sel:[1,0,0] op_sel_hi:[0,1,1]
	v_mov_b32_e32 v35, v7
	v_pk_add_f32 v[6:7], v[14:15], v[18:19]
	v_pk_add_f32 v[8:9], v[14:15], v[18:19] neg_lo:[0,1] neg_hi:[0,1]
	v_mov_b32_e32 v37, v25
	v_pk_add_f32 v[12:13], v[28:29], v[14:15] op_sel:[1,0] op_sel_hi:[0,1]
	v_pk_fma_f32 v[14:15], v[6:7], 0.5, v[28:29] op_sel:[0,0,1] op_sel_hi:[1,0,0] neg_lo:[1,0,0] neg_hi:[1,0,0]
	v_pk_mul_f32 v[24:25], v[8:9], s[2:3] op_sel_hi:[1,0]
	v_mov_b32_e32 v41, v27
	v_pk_add_f32 v[10:11], v[32:33], v[34:35]
	v_mov_b32_e32 v39, v1
	v_pk_add_f32 v[0:1], v[30:31], v[36:37]
	v_pk_add_f32 v[26:27], v[12:13], v[18:19]
	v_pk_add_f32 v[18:19], v[14:15], v[24:25] op_sel:[0,1] op_sel_hi:[1,0] neg_lo:[0,1] neg_hi:[0,1]
	v_pk_add_f32 v[12:13], v[14:15], v[24:25] op_sel:[0,1] op_sel_hi:[1,0]
	v_pk_add_f32 v[8:9], v[10:11], v[38:39]
	v_pk_add_f32 v[6:7], v[0:1], v[40:41]
	v_mov_b32_e32 v0, v27
	v_mov_b32_e32 v1, v26
	;; [unrolled: 1-line block ×4, first 2 shown]
	ds_write2_b64 v58, v[0:1], v[10:11] offset1:33
	v_mov_b32_e32 v0, v19
	v_mov_b32_e32 v1, v12
	ds_write_b64 v58, v[0:1] offset:528
	v_pk_add_f32 v[0:1], v[36:37], v[40:41]
	v_pk_add_f32 v[10:11], v[36:37], v[40:41] neg_lo:[0,1] neg_hi:[0,1]
	v_pk_fma_f32 v[0:1], v[0:1], 0.5, v[30:31] op_sel_hi:[1,0,1] neg_lo:[1,0,0] neg_hi:[1,0,0]
	v_pk_mul_f32 v[10:11], v[10:11], s[2:3] op_sel_hi:[1,0]
	s_nop 0
	v_pk_add_f32 v[14:15], v[0:1], v[10:11] op_sel:[0,1] op_sel_hi:[1,0]
	v_pk_add_f32 v[10:11], v[0:1], v[10:11] op_sel:[0,1] op_sel_hi:[1,0] neg_lo:[0,1] neg_hi:[0,1]
	v_mov_b32_e32 v0, v14
	v_mov_b32_e32 v1, v11
	ds_write2_b64 v59, v[6:7], v[0:1] offset1:33
	v_mov_b32_e32 v0, v10
	v_mov_b32_e32 v1, v15
	ds_write_b64 v59, v[0:1] offset:528
	v_pk_add_f32 v[0:1], v[34:35], v[38:39]
	s_nop 0
	v_pk_fma_f32 v[24:25], v[0:1], 0.5, v[32:33] op_sel_hi:[1,0,1] neg_lo:[1,0,0] neg_hi:[1,0,0]
	v_pk_add_f32 v[0:1], v[34:35], v[38:39] neg_lo:[0,1] neg_hi:[0,1]
	s_nop 0
	v_pk_mul_f32 v[28:29], v[0:1], s[2:3] op_sel_hi:[1,0]
	s_nop 0
	v_pk_add_f32 v[0:1], v[24:25], v[28:29] op_sel:[0,1] op_sel_hi:[1,0]
	v_pk_add_f32 v[24:25], v[24:25], v[28:29] op_sel:[0,1] op_sel_hi:[1,0] neg_lo:[0,1] neg_hi:[0,1]
	v_mov_b32_e32 v28, v0
	v_mov_b32_e32 v29, v25
	ds_write2_b64 v60, v[8:9], v[28:29] offset1:33
	v_mov_b32_e32 v28, v24
	v_mov_b32_e32 v29, v1
	ds_write_b64 v60, v[28:29] offset:528
	s_waitcnt lgkmcnt(0)
	s_barrier
	s_and_saveexec_b64 s[2:3], vcc
	s_cbranch_execnz .LBB0_18
; %bb.16:
	s_or_b64 exec, exec, s[2:3]
	s_and_b64 s[0:1], s[0:1], vcc
	s_and_saveexec_b64 s[2:3], s[0:1]
	s_cbranch_execnz .LBB0_19
.LBB0_17:
	s_endpgm
.LBB0_18:
	v_add_u32_e32 v8, 0x1000, v21
	v_add_u32_e32 v0, 0x1800, v21
	ds_read2_b64 v[28:31], v21 offset1:99
	ds_read2_b64 v[4:7], v4 offset0:70 offset1:169
	ds_read2_b64 v[0:3], v0 offset0:24 offset1:123
	ds_read2_b64 v[8:11], v8 offset0:82 offset1:181
	v_add_u32_e32 v12, 0x800, v21
	ds_read2_b64 v[12:15], v12 offset0:140 offset1:239
	ds_read_b64 v[16:17], v21 offset:7920
	s_waitcnt lgkmcnt(5)
	v_mov_b32_e32 v27, v28
	s_waitcnt lgkmcnt(3)
	v_mov_b32_e32 v24, v0
	;; [unrolled: 2-line block ×3, first 2 shown]
	v_mov_b32_e32 v0, v10
	s_waitcnt lgkmcnt(1)
	v_mov_b32_e32 v10, v14
	v_mov_b32_e32 v11, v13
	v_mov_b32_e32 v14, v12
	v_mov_b32_e32 v12, v5
	v_mov_b32_e32 v19, v4
	v_mov_b32_e32 v26, v29
	v_mov_b32_e32 v18, v31
	v_mov_b32_e32 v13, v30
	s_or_b64 exec, exec, s[2:3]
	s_and_b64 s[0:1], s[0:1], vcc
	s_and_saveexec_b64 s[2:3], s[0:1]
	s_cbranch_execz .LBB0_17
.LBB0_19:
	v_mul_u32_u24_e32 v4, 10, v20
	v_lshlrev_b32_e32 v4, 3, v4
	global_load_dwordx4 v[28:31], v4, s[4:5] offset:832
	global_load_dwordx4 v[32:35], v4, s[4:5] offset:816
	;; [unrolled: 1-line block ×5, first 2 shown]
	v_mov_b32_e32 v21, 0
	s_waitcnt lgkmcnt(0)
	v_mov_b32_e32 v50, v17
	v_mov_b32_e32 v52, v3
	;; [unrolled: 1-line block ×8, first 2 shown]
	v_lshl_add_u64 v[18:19], v[20:21], 3, v[22:23]
	v_mov_b32_e32 v5, v26
	v_mov_b32_e32 v26, v13
	v_mov_b32_e32 v64, v11
	v_mov_b32_e32 v4, v27
	v_mov_b32_e32 v60, v7
	v_mov_b32_e32 v68, v15
	v_mov_b32_e32 v66, v9
	s_mov_b32 s10, 0x3f575c64
	s_mov_b32 s11, 0xbf0a6770
	;; [unrolled: 1-line block ×32, first 2 shown]
	s_waitcnt vmcnt(4)
	v_pk_mul_f32 v[20:21], v[50:51], v[30:31] op_sel_hi:[0,1]
	v_pk_mul_f32 v[22:23], v[52:53], v[28:29] op_sel_hi:[0,1]
	s_waitcnt vmcnt(3)
	v_pk_mul_f32 v[50:51], v[62:63], v[32:33] op_sel_hi:[0,1]
	v_pk_mul_f32 v[52:53], v[58:59], v[34:35] op_sel_hi:[0,1]
	s_waitcnt vmcnt(2)
	v_mov_b32_e32 v58, v37
	v_pk_mul_f32 v[62:63], v[48:49], v[36:37]
	v_pk_fma_f32 v[70:71], v[16:17], v[30:31], v[20:21] op_sel:[0,0,1] op_sel_hi:[0,1,0] neg_lo:[0,0,1] neg_hi:[0,0,1]
	v_pk_fma_f32 v[16:17], v[16:17], v[30:31], v[20:21] op_sel:[0,0,1] op_sel_hi:[0,1,0]
	v_pk_fma_f32 v[20:21], v[2:3], v[28:29], v[22:23] op_sel:[0,0,1] op_sel_hi:[1,1,0] neg_lo:[0,0,1] neg_hi:[0,0,1]
	v_pk_fma_f32 v[2:3], v[2:3], v[28:29], v[22:23] op_sel:[0,0,1] op_sel_hi:[0,1,0]
	;; [unrolled: 2-line block ×3, first 2 shown]
	v_pk_mul_f32 v[12:13], v[12:13], v[38:39] op_sel_hi:[0,1]
	v_pk_mul_f32 v[30:31], v[48:49], v[58:59]
	v_mov_b32_e32 v0, v63
	s_waitcnt vmcnt(1)
	v_pk_mul_f32 v[64:65], v[64:65], v[42:43] op_sel_hi:[0,1]
	v_pk_fma_f32 v[32:33], v[54:55], v[38:39], v[12:13] op_sel:[0,0,1] op_sel_hi:[1,1,0] neg_lo:[0,0,1] neg_hi:[0,0,1]
	v_pk_fma_f32 v[12:13], v[56:57], v[38:39], v[12:13] op_sel:[0,0,1] op_sel_hi:[0,1,0]
	v_pk_fma_f32 v[26:27], v[26:27], v[36:37], v[30:31] op_sel_hi:[0,1,1] neg_lo:[0,0,1] neg_hi:[0,0,1]
	v_pk_fma_f32 v[30:31], v[48:49], v[36:37], v[0:1]
	v_pk_mul_f32 v[60:61], v[60:61], v[40:41] op_sel_hi:[0,1]
	v_pk_fma_f32 v[38:39], v[14:15], v[42:43], v[64:65] op_sel:[0,0,1] op_sel_hi:[1,1,0] neg_lo:[0,0,1] neg_hi:[0,0,1]
	v_pk_fma_f32 v[14:15], v[14:15], v[42:43], v[64:65] op_sel:[0,0,1] op_sel_hi:[0,1,0]
	v_mov_b32_e32 v33, v13
	v_pk_add_f32 v[12:13], v[26:27], v[70:71] neg_lo:[0,1] neg_hi:[0,1]
	v_pk_add_f32 v[50:51], v[26:27], v[70:71]
	v_mov_b32_e32 v27, v30
	v_pk_fma_f32 v[28:29], v[24:25], v[34:35], v[52:53] op_sel:[0,0,1] op_sel_hi:[1,1,0] neg_lo:[0,0,1] neg_hi:[0,0,1]
	v_pk_fma_f32 v[24:25], v[24:25], v[34:35], v[52:53] op_sel:[0,0,1] op_sel_hi:[0,1,0]
	v_pk_fma_f32 v[34:35], v[6:7], v[40:41], v[60:61] op_sel:[0,0,1] op_sel_hi:[1,1,0] neg_lo:[0,0,1] neg_hi:[0,0,1]
	v_pk_fma_f32 v[6:7], v[6:7], v[40:41], v[60:61] op_sel:[0,0,1] op_sel_hi:[0,1,0]
	v_mov_b32_e32 v39, v15
	v_pk_add_f32 v[14:15], v[4:5], v[26:27]
	s_waitcnt vmcnt(0)
	v_pk_mul_f32 v[68:69], v[68:69], v[44:45] op_sel_hi:[0,1]
	v_mov_b32_e32 v35, v7
	v_pk_add_f32 v[14:15], v[14:15], v[32:33]
	v_pk_mul_f32 v[66:67], v[66:67], v[46:47] op_sel_hi:[0,1]
	v_pk_fma_f32 v[42:43], v[10:11], v[44:45], v[68:69] op_sel:[0,0,1] op_sel_hi:[1,1,0] neg_lo:[0,0,1] neg_hi:[0,0,1]
	v_pk_fma_f32 v[10:11], v[10:11], v[44:45], v[68:69] op_sel:[0,0,1] op_sel_hi:[0,1,0]
	v_pk_add_f32 v[14:15], v[14:15], v[34:35]
	v_pk_fma_f32 v[40:41], v[8:9], v[46:47], v[66:67] op_sel:[0,0,1] op_sel_hi:[1,1,0] neg_lo:[0,0,1] neg_hi:[0,0,1]
	v_pk_fma_f32 v[8:9], v[8:9], v[46:47], v[66:67] op_sel:[0,0,1] op_sel_hi:[0,1,0]
	v_mov_b32_e32 v43, v11
	v_pk_add_f32 v[14:15], v[14:15], v[38:39]
	v_mov_b32_e32 v41, v9
	v_pk_add_f32 v[14:15], v[14:15], v[42:43]
	;; [unrolled: 2-line block ×4, first 2 shown]
	v_mov_b32_e32 v21, v3
	v_mov_b32_e32 v10, v17
	;; [unrolled: 1-line block ×3, first 2 shown]
	v_pk_add_f32 v[14:15], v[28:29], v[14:15]
	v_mov_b32_e32 v36, v70
	v_mov_b32_e32 v37, v17
	v_pk_add_f32 v[52:53], v[30:31], v[10:11] neg_lo:[0,1] neg_hi:[0,1]
	v_pk_add_f32 v[10:11], v[10:11], v[16:17]
	v_mov_b32_e32 v51, v12
	v_pk_add_f32 v[14:15], v[20:21], v[14:15]
	v_pk_mul_f32 v[12:13], v[50:51], s[10:11]
	v_pk_add_f32 v[14:15], v[36:37], v[14:15]
	v_mov_b32_e32 v10, v52
	v_pk_add_f32 v[24:25], v[32:33], v[20:21] neg_lo:[0,1] neg_hi:[0,1]
	v_pk_add_f32 v[8:9], v[32:33], v[20:21]
	global_store_dwordx2 v[18:19], v[14:15], off
	v_pk_fma_f32 v[16:17], v[52:53], s[0:1], v[12:13] neg_lo:[1,0,0] neg_hi:[1,0,0]
	v_pk_fma_f32 v[14:15], v[10:11], s[0:1], v[12:13]
	v_pk_add_f32 v[44:45], v[34:35], v[28:29] neg_lo:[0,1] neg_hi:[0,1]
	v_pk_add_f32 v[6:7], v[34:35], v[28:29]
	v_mov_b32_e32 v17, v15
	v_mov_b32_e32 v34, v8
	;; [unrolled: 1-line block ×3, first 2 shown]
	v_pk_add_f32 v[46:47], v[38:39], v[22:23] neg_lo:[0,1] neg_hi:[0,1]
	v_pk_add_f32 v[2:3], v[38:39], v[22:23]
	v_pk_add_f32 v[22:23], v[4:5], v[16:17]
	v_pk_mul_f32 v[16:17], v[34:35], s[16:17]
	v_mov_b32_e32 v8, v25
	v_pk_fma_f32 v[24:25], v[8:9], s[2:3], v[16:17] neg_lo:[1,0,0] neg_hi:[1,0,0]
	v_pk_fma_f32 v[20:21], v[8:9], s[2:3], v[16:17]
	v_mov_b32_e32 v36, v6
	v_mov_b32_e32 v25, v21
	;; [unrolled: 1-line block ×3, first 2 shown]
	v_pk_add_f32 v[26:27], v[22:23], v[24:25]
	v_pk_mul_f32 v[22:23], v[36:37], s[20:21]
	v_mov_b32_e32 v6, v45
	v_pk_fma_f32 v[28:29], v[6:7], s[4:5], v[22:23] neg_lo:[1,0,0] neg_hi:[1,0,0]
	v_pk_fma_f32 v[24:25], v[6:7], s[4:5], v[22:23]
	v_mov_b32_e32 v38, v2
	v_mov_b32_e32 v29, v25
	;; [unrolled: 1-line block ×3, first 2 shown]
	v_pk_add_f32 v[30:31], v[26:27], v[28:29]
	v_pk_mul_f32 v[26:27], v[38:39], s[22:23]
	v_mov_b32_e32 v2, v47
	v_pk_add_f32 v[48:49], v[42:43], v[40:41] neg_lo:[0,1] neg_hi:[0,1]
	v_pk_add_f32 v[0:1], v[42:43], v[40:41]
	v_pk_fma_f32 v[32:33], v[2:3], s[6:7], v[26:27] neg_lo:[1,0,0] neg_hi:[1,0,0]
	v_pk_fma_f32 v[28:29], v[2:3], s[6:7], v[26:27]
	v_mov_b32_e32 v42, v0
	v_mov_b32_e32 v33, v29
	;; [unrolled: 1-line block ×3, first 2 shown]
	v_pk_add_f32 v[40:41], v[30:31], v[32:33]
	v_pk_mul_f32 v[30:31], v[42:43], s[26:27]
	v_mov_b32_e32 v0, v49
	v_pk_fma_f32 v[44:45], v[0:1], s[8:9], v[30:31] neg_lo:[1,0,0] neg_hi:[1,0,0]
	v_pk_fma_f32 v[32:33], v[0:1], s[8:9], v[30:31]
	v_pk_mul_f32 v[48:49], v[34:35], s[22:23]
	v_mov_b32_e32 v45, v33
	v_pk_add_f32 v[40:41], v[40:41], v[44:45]
	global_store_dwordx2 v[18:19], v[40:41], off offset:792
	v_pk_mul_f32 v[40:41], v[50:51], s[16:17]
	v_pk_fma_f32 v[54:55], v[8:9], s[6:7], v[48:49] neg_lo:[1,0,0] neg_hi:[1,0,0]
	v_pk_fma_f32 v[44:45], v[52:53], s[2:3], v[40:41] neg_lo:[1,0,0] neg_hi:[1,0,0]
	v_pk_fma_f32 v[46:47], v[10:11], s[2:3], v[40:41]
	v_pk_fma_f32 v[56:57], v[8:9], s[6:7], v[48:49]
	v_mov_b32_e32 v45, v47
	v_pk_add_f32 v[44:45], v[4:5], v[44:45]
	v_mov_b32_e32 v55, v57
	v_pk_add_f32 v[44:45], v[44:45], v[54:55]
	v_pk_mul_f32 v[54:55], v[36:37], s[24:25]
	v_pk_mul_f32 v[72:73], v[34:35], s[24:25]
	v_pk_fma_f32 v[58:59], v[6:7], s[12:13], v[54:55] neg_lo:[1,0,0] neg_hi:[1,0,0]
	v_pk_fma_f32 v[60:61], v[6:7], s[12:13], v[54:55]
	v_pk_fma_f32 v[74:75], v[8:9], s[12:13], v[72:73] neg_lo:[1,0,0] neg_hi:[1,0,0]
	v_mov_b32_e32 v59, v61
	v_pk_add_f32 v[44:45], v[44:45], v[58:59]
	v_pk_mul_f32 v[58:59], v[38:39], s[28:29]
	v_pk_fma_f32 v[76:77], v[8:9], s[12:13], v[72:73]
	v_pk_fma_f32 v[62:63], v[2:3], s[14:15], v[58:59] neg_lo:[1,0,0] neg_hi:[1,0,0]
	v_pk_fma_f32 v[64:65], v[2:3], s[14:15], v[58:59]
	v_mov_b32_e32 v75, v77
	v_mov_b32_e32 v63, v65
	v_pk_add_f32 v[44:45], v[44:45], v[62:63]
	v_pk_mul_f32 v[62:63], v[42:43], s[30:31]
	s_mov_b32 s17, 0x3f68dda4
	v_pk_fma_f32 v[66:67], v[0:1], s[18:19], v[62:63] neg_lo:[1,0,0] neg_hi:[1,0,0]
	v_pk_fma_f32 v[68:69], v[0:1], s[18:19], v[62:63]
	s_mov_b32 s24, s17
	v_mov_b32_e32 v67, v69
	v_pk_add_f32 v[44:45], v[44:45], v[66:67]
	global_store_dwordx2 v[18:19], v[44:45], off offset:1584
	v_pk_mul_f32 v[44:45], v[50:51], s[20:21]
	s_mov_b32 s25, s16
	v_pk_fma_f32 v[66:67], v[52:53], s[4:5], v[44:45] neg_lo:[1,0,0] neg_hi:[1,0,0]
	v_pk_fma_f32 v[70:71], v[10:11], s[4:5], v[44:45]
	v_pk_mul_f32 v[92:93], v[34:35], s[28:29]
	v_mov_b32_e32 v67, v71
	v_pk_add_f32 v[66:67], v[4:5], v[66:67]
	v_pk_fma_f32 v[94:95], v[8:9], s[14:15], v[92:93] neg_lo:[1,0,0] neg_hi:[1,0,0]
	v_pk_add_f32 v[66:67], v[66:67], v[74:75]
	v_pk_mul_f32 v[74:75], v[36:37], s[16:17]
	v_pk_fma_f32 v[96:97], v[8:9], s[14:15], v[92:93]
	v_pk_fma_f32 v[78:79], v[6:7], s[24:25], v[74:75] neg_lo:[1,0,0] neg_hi:[1,0,0]
	v_pk_fma_f32 v[80:81], v[6:7], s[24:25], v[74:75]
	v_mov_b32_e32 v95, v97
	v_mov_b32_e32 v79, v81
	v_pk_add_f32 v[66:67], v[66:67], v[78:79]
	v_pk_mul_f32 v[78:79], v[38:39], s[10:11]
	v_pk_mul_f32 v[34:35], v[34:35], s[30:31]
	v_pk_fma_f32 v[82:83], v[2:3], s[0:1], v[78:79] neg_lo:[1,0,0] neg_hi:[1,0,0]
	v_pk_fma_f32 v[84:85], v[2:3], s[0:1], v[78:79]
	v_pk_fma_f32 v[110:111], v[8:9], s[18:19], v[34:35]
	v_mov_b32_e32 v83, v85
	v_pk_add_f32 v[66:67], v[66:67], v[82:83]
	v_pk_mul_f32 v[82:83], v[42:43], s[22:23]
	s_nop 0
	v_pk_fma_f32 v[86:87], v[0:1], s[6:7], v[82:83] neg_lo:[1,0,0] neg_hi:[1,0,0]
	v_pk_fma_f32 v[88:89], v[0:1], s[6:7], v[82:83]
	s_nop 0
	v_mov_b32_e32 v87, v89
	v_pk_add_f32 v[66:67], v[66:67], v[86:87]
	global_store_dwordx2 v[18:19], v[66:67], off offset:2376
	v_pk_mul_f32 v[66:67], v[50:51], s[22:23]
	v_pk_mul_f32 v[50:51], v[50:51], s[26:27]
	v_pk_fma_f32 v[86:87], v[52:53], s[6:7], v[66:67] neg_lo:[1,0,0] neg_hi:[1,0,0]
	v_pk_fma_f32 v[90:91], v[10:11], s[6:7], v[66:67]
	v_pk_fma_f32 v[52:53], v[52:53], s[8:9], v[50:51] neg_lo:[1,0,0] neg_hi:[1,0,0]
	v_mov_b32_e32 v87, v91
	v_pk_add_f32 v[86:87], v[4:5], v[86:87]
	s_nop 0
	v_pk_add_f32 v[86:87], v[86:87], v[94:95]
	v_pk_mul_f32 v[94:95], v[36:37], s[10:11]
	v_pk_mul_f32 v[36:37], v[36:37], s[22:23]
	v_pk_fma_f32 v[98:99], v[6:7], s[0:1], v[94:95] neg_lo:[1,0,0] neg_hi:[1,0,0]
	v_pk_fma_f32 v[100:101], v[6:7], s[0:1], v[94:95]
	v_pk_fma_f32 v[112:113], v[6:7], s[6:7], v[36:37]
	v_mov_b32_e32 v99, v101
	v_pk_add_f32 v[86:87], v[86:87], v[98:99]
	v_pk_mul_f32 v[98:99], v[38:39], s[26:27]
	v_pk_mul_f32 v[38:39], v[38:39], s[16:17]
	v_pk_fma_f32 v[102:103], v[2:3], s[8:9], v[98:99] neg_lo:[1,0,0] neg_hi:[1,0,0]
	v_pk_fma_f32 v[104:105], v[2:3], s[8:9], v[98:99]
	v_pk_fma_f32 v[114:115], v[2:3], s[24:25], v[38:39]
	v_mov_b32_e32 v103, v105
	;; [unrolled: 7-line block ×3, first 2 shown]
	v_pk_add_f32 v[86:87], v[86:87], v[106:107]
	global_store_dwordx2 v[18:19], v[86:87], off offset:3168
	v_pk_fma_f32 v[86:87], v[10:11], s[8:9], v[50:51]
	v_pk_fma_f32 v[106:107], v[8:9], s[18:19], v[34:35] neg_lo:[1,0,0] neg_hi:[1,0,0]
	v_mov_b32_e32 v53, v87
	v_pk_add_f32 v[52:53], v[4:5], v[52:53]
	v_mov_b32_e32 v107, v111
	v_pk_add_f32 v[52:53], v[52:53], v[106:107]
	v_pk_fma_f32 v[106:107], v[6:7], s[6:7], v[36:37] neg_lo:[1,0,0] neg_hi:[1,0,0]
	v_pk_fma_f32 v[50:51], v[10:11], s[8:9], v[50:51] neg_lo:[0,0,1] neg_hi:[0,0,1]
	v_mov_b32_e32 v107, v113
	v_pk_add_f32 v[52:53], v[52:53], v[106:107]
	v_pk_fma_f32 v[106:107], v[2:3], s[24:25], v[38:39] neg_lo:[1,0,0] neg_hi:[1,0,0]
	v_mov_b32_e32 v87, v51
	v_mov_b32_e32 v107, v115
	v_pk_fma_f32 v[34:35], v[8:9], s[18:19], v[34:35] neg_lo:[0,0,1] neg_hi:[0,0,1]
	v_pk_add_f32 v[52:53], v[52:53], v[106:107]
	v_pk_fma_f32 v[106:107], v[0:1], s[4:5], v[42:43] neg_lo:[1,0,0] neg_hi:[1,0,0]
	v_mov_b32_e32 v111, v35
	v_pk_add_f32 v[34:35], v[4:5], v[86:87]
	v_pk_fma_f32 v[36:37], v[6:7], s[6:7], v[36:37] neg_lo:[0,0,1] neg_hi:[0,0,1]
	v_mov_b32_e32 v107, v117
	v_pk_add_f32 v[34:35], v[34:35], v[110:111]
	v_mov_b32_e32 v113, v37
	v_pk_fma_f32 v[36:37], v[2:3], s[24:25], v[38:39] neg_lo:[0,0,1] neg_hi:[0,0,1]
	v_pk_add_f32 v[52:53], v[52:53], v[106:107]
	v_pk_add_f32 v[34:35], v[34:35], v[112:113]
	v_mov_b32_e32 v115, v37
	v_pk_fma_f32 v[36:37], v[0:1], s[4:5], v[42:43] neg_lo:[0,0,1] neg_hi:[0,0,1]
	s_movk_i32 s10, 0x1000
	global_store_dwordx2 v[18:19], v[52:53], off offset:3960
	v_pk_add_f32 v[34:35], v[34:35], v[114:115]
	v_mov_b32_e32 v117, v37
	v_add_co_u32_e32 v18, vcc, s10, v18
	v_pk_add_f32 v[34:35], v[34:35], v[116:117]
	s_nop 0
	v_addc_co_u32_e32 v19, vcc, 0, v19, vcc
	global_store_dwordx2 v[18:19], v[34:35], off offset:656
	v_pk_fma_f32 v[34:35], v[10:11], s[6:7], v[66:67] neg_lo:[0,0,1] neg_hi:[0,0,1]
	v_pk_fma_f32 v[36:37], v[6:7], s[0:1], v[94:95] neg_lo:[0,0,1] neg_hi:[0,0,1]
	v_mov_b32_e32 v91, v35
	v_pk_fma_f32 v[34:35], v[8:9], s[14:15], v[92:93] neg_lo:[0,0,1] neg_hi:[0,0,1]
	v_mov_b32_e32 v101, v37
	v_mov_b32_e32 v97, v35
	v_pk_add_f32 v[34:35], v[4:5], v[90:91]
	v_pk_fma_f32 v[36:37], v[2:3], s[8:9], v[98:99] neg_lo:[0,0,1] neg_hi:[0,0,1]
	v_pk_add_f32 v[34:35], v[34:35], v[96:97]
	v_mov_b32_e32 v105, v37
	v_pk_add_f32 v[34:35], v[34:35], v[100:101]
	v_pk_fma_f32 v[36:37], v[0:1], s[24:25], v[102:103] neg_lo:[0,0,1] neg_hi:[0,0,1]
	v_pk_add_f32 v[34:35], v[34:35], v[104:105]
	v_mov_b32_e32 v109, v37
	v_pk_add_f32 v[34:35], v[34:35], v[108:109]
	global_store_dwordx2 v[18:19], v[34:35], off offset:1448
	v_pk_fma_f32 v[34:35], v[10:11], s[4:5], v[44:45] neg_lo:[0,0,1] neg_hi:[0,0,1]
	v_pk_fma_f32 v[36:37], v[6:7], s[24:25], v[74:75] neg_lo:[0,0,1] neg_hi:[0,0,1]
	v_mov_b32_e32 v71, v35
	v_pk_fma_f32 v[34:35], v[8:9], s[12:13], v[72:73] neg_lo:[0,0,1] neg_hi:[0,0,1]
	v_mov_b32_e32 v81, v37
	v_mov_b32_e32 v77, v35
	v_pk_add_f32 v[34:35], v[4:5], v[70:71]
	v_pk_fma_f32 v[36:37], v[2:3], s[0:1], v[78:79] neg_lo:[0,0,1] neg_hi:[0,0,1]
	v_pk_add_f32 v[34:35], v[34:35], v[76:77]
	v_mov_b32_e32 v85, v37
	v_pk_add_f32 v[34:35], v[34:35], v[80:81]
	v_pk_fma_f32 v[36:37], v[0:1], s[6:7], v[82:83] neg_lo:[0,0,1] neg_hi:[0,0,1]
	v_pk_add_f32 v[34:35], v[34:35], v[84:85]
	v_mov_b32_e32 v89, v37
	v_pk_add_f32 v[34:35], v[34:35], v[88:89]
	global_store_dwordx2 v[18:19], v[34:35], off offset:2240
	v_pk_fma_f32 v[34:35], v[10:11], s[2:3], v[40:41] neg_lo:[0,0,1] neg_hi:[0,0,1]
	v_pk_fma_f32 v[10:11], v[10:11], s[0:1], v[12:13] neg_lo:[0,0,1] neg_hi:[0,0,1]
	v_mov_b32_e32 v47, v35
	v_pk_fma_f32 v[36:37], v[8:9], s[6:7], v[48:49] neg_lo:[0,0,1] neg_hi:[0,0,1]
	v_mov_b32_e32 v15, v11
	v_pk_fma_f32 v[8:9], v[8:9], s[2:3], v[16:17] neg_lo:[0,0,1] neg_hi:[0,0,1]
	v_pk_add_f32 v[34:35], v[4:5], v[46:47]
	v_mov_b32_e32 v57, v37
	v_pk_fma_f32 v[36:37], v[6:7], s[12:13], v[54:55] neg_lo:[0,0,1] neg_hi:[0,0,1]
	v_pk_add_f32 v[4:5], v[4:5], v[14:15]
	;; [unrolled: 3-line block ×7, first 2 shown]
	v_mov_b32_e32 v69, v37
	v_pk_add_f32 v[2:3], v[4:5], v[28:29]
	v_mov_b32_e32 v33, v1
	v_pk_add_f32 v[34:35], v[34:35], v[68:69]
	v_pk_add_f32 v[0:1], v[2:3], v[32:33]
	global_store_dwordx2 v[18:19], v[34:35], off offset:3032
	global_store_dwordx2 v[18:19], v[0:1], off offset:3824
	s_endpgm
	.section	.rodata,"a",@progbits
	.p2align	6, 0x0
	.amdhsa_kernel fft_rtc_fwd_len1089_factors_3_11_3_11_wgs_121_tpt_121_sp_ip_CI_unitstride_sbrr_dirReg
		.amdhsa_group_segment_fixed_size 0
		.amdhsa_private_segment_fixed_size 0
		.amdhsa_kernarg_size 88
		.amdhsa_user_sgpr_count 2
		.amdhsa_user_sgpr_dispatch_ptr 0
		.amdhsa_user_sgpr_queue_ptr 0
		.amdhsa_user_sgpr_kernarg_segment_ptr 1
		.amdhsa_user_sgpr_dispatch_id 0
		.amdhsa_user_sgpr_kernarg_preload_length 0
		.amdhsa_user_sgpr_kernarg_preload_offset 0
		.amdhsa_user_sgpr_private_segment_size 0
		.amdhsa_uses_dynamic_stack 0
		.amdhsa_enable_private_segment 0
		.amdhsa_system_sgpr_workgroup_id_x 1
		.amdhsa_system_sgpr_workgroup_id_y 0
		.amdhsa_system_sgpr_workgroup_id_z 0
		.amdhsa_system_sgpr_workgroup_info 0
		.amdhsa_system_vgpr_workitem_id 0
		.amdhsa_next_free_vgpr 118
		.amdhsa_next_free_sgpr 32
		.amdhsa_accum_offset 120
		.amdhsa_reserve_vcc 1
		.amdhsa_float_round_mode_32 0
		.amdhsa_float_round_mode_16_64 0
		.amdhsa_float_denorm_mode_32 3
		.amdhsa_float_denorm_mode_16_64 3
		.amdhsa_dx10_clamp 1
		.amdhsa_ieee_mode 1
		.amdhsa_fp16_overflow 0
		.amdhsa_tg_split 0
		.amdhsa_exception_fp_ieee_invalid_op 0
		.amdhsa_exception_fp_denorm_src 0
		.amdhsa_exception_fp_ieee_div_zero 0
		.amdhsa_exception_fp_ieee_overflow 0
		.amdhsa_exception_fp_ieee_underflow 0
		.amdhsa_exception_fp_ieee_inexact 0
		.amdhsa_exception_int_div_zero 0
	.end_amdhsa_kernel
	.text
.Lfunc_end0:
	.size	fft_rtc_fwd_len1089_factors_3_11_3_11_wgs_121_tpt_121_sp_ip_CI_unitstride_sbrr_dirReg, .Lfunc_end0-fft_rtc_fwd_len1089_factors_3_11_3_11_wgs_121_tpt_121_sp_ip_CI_unitstride_sbrr_dirReg
                                        ; -- End function
	.section	.AMDGPU.csdata,"",@progbits
; Kernel info:
; codeLenInByte = 7352
; NumSgprs: 38
; NumVgprs: 118
; NumAgprs: 0
; TotalNumVgprs: 118
; ScratchSize: 0
; MemoryBound: 0
; FloatMode: 240
; IeeeMode: 1
; LDSByteSize: 0 bytes/workgroup (compile time only)
; SGPRBlocks: 4
; VGPRBlocks: 14
; NumSGPRsForWavesPerEU: 38
; NumVGPRsForWavesPerEU: 118
; AccumOffset: 120
; Occupancy: 4
; WaveLimiterHint : 1
; COMPUTE_PGM_RSRC2:SCRATCH_EN: 0
; COMPUTE_PGM_RSRC2:USER_SGPR: 2
; COMPUTE_PGM_RSRC2:TRAP_HANDLER: 0
; COMPUTE_PGM_RSRC2:TGID_X_EN: 1
; COMPUTE_PGM_RSRC2:TGID_Y_EN: 0
; COMPUTE_PGM_RSRC2:TGID_Z_EN: 0
; COMPUTE_PGM_RSRC2:TIDIG_COMP_CNT: 0
; COMPUTE_PGM_RSRC3_GFX90A:ACCUM_OFFSET: 29
; COMPUTE_PGM_RSRC3_GFX90A:TG_SPLIT: 0
	.text
	.p2alignl 6, 3212836864
	.fill 256, 4, 3212836864
	.type	__hip_cuid_67a8f3cbcf4c2b64,@object ; @__hip_cuid_67a8f3cbcf4c2b64
	.section	.bss,"aw",@nobits
	.globl	__hip_cuid_67a8f3cbcf4c2b64
__hip_cuid_67a8f3cbcf4c2b64:
	.byte	0                               ; 0x0
	.size	__hip_cuid_67a8f3cbcf4c2b64, 1

	.ident	"AMD clang version 19.0.0git (https://github.com/RadeonOpenCompute/llvm-project roc-6.4.0 25133 c7fe45cf4b819c5991fe208aaa96edf142730f1d)"
	.section	".note.GNU-stack","",@progbits
	.addrsig
	.addrsig_sym __hip_cuid_67a8f3cbcf4c2b64
	.amdgpu_metadata
---
amdhsa.kernels:
  - .agpr_count:     0
    .args:
      - .actual_access:  read_only
        .address_space:  global
        .offset:         0
        .size:           8
        .value_kind:     global_buffer
      - .offset:         8
        .size:           8
        .value_kind:     by_value
      - .actual_access:  read_only
        .address_space:  global
        .offset:         16
        .size:           8
        .value_kind:     global_buffer
      - .actual_access:  read_only
        .address_space:  global
        .offset:         24
        .size:           8
        .value_kind:     global_buffer
      - .offset:         32
        .size:           8
        .value_kind:     by_value
      - .actual_access:  read_only
        .address_space:  global
        .offset:         40
        .size:           8
        .value_kind:     global_buffer
      - .actual_access:  read_only
        .address_space:  global
        .offset:         48
        .size:           8
        .value_kind:     global_buffer
      - .offset:         56
        .size:           4
        .value_kind:     by_value
      - .actual_access:  read_only
        .address_space:  global
        .offset:         64
        .size:           8
        .value_kind:     global_buffer
      - .actual_access:  read_only
        .address_space:  global
        .offset:         72
        .size:           8
        .value_kind:     global_buffer
      - .address_space:  global
        .offset:         80
        .size:           8
        .value_kind:     global_buffer
    .group_segment_fixed_size: 0
    .kernarg_segment_align: 8
    .kernarg_segment_size: 88
    .language:       OpenCL C
    .language_version:
      - 2
      - 0
    .max_flat_workgroup_size: 121
    .name:           fft_rtc_fwd_len1089_factors_3_11_3_11_wgs_121_tpt_121_sp_ip_CI_unitstride_sbrr_dirReg
    .private_segment_fixed_size: 0
    .sgpr_count:     38
    .sgpr_spill_count: 0
    .symbol:         fft_rtc_fwd_len1089_factors_3_11_3_11_wgs_121_tpt_121_sp_ip_CI_unitstride_sbrr_dirReg.kd
    .uniform_work_group_size: 1
    .uses_dynamic_stack: false
    .vgpr_count:     118
    .vgpr_spill_count: 0
    .wavefront_size: 64
amdhsa.target:   amdgcn-amd-amdhsa--gfx950
amdhsa.version:
  - 1
  - 2
...

	.end_amdgpu_metadata
